;; amdgpu-corpus repo=ROCm/rocFFT kind=compiled arch=gfx1030 opt=O3
	.text
	.amdgcn_target "amdgcn-amd-amdhsa--gfx1030"
	.amdhsa_code_object_version 6
	.protected	fft_rtc_back_len728_factors_13_7_8_wgs_104_tpt_104_halfLds_dp_op_CI_CI_sbrr_dirReg ; -- Begin function fft_rtc_back_len728_factors_13_7_8_wgs_104_tpt_104_halfLds_dp_op_CI_CI_sbrr_dirReg
	.globl	fft_rtc_back_len728_factors_13_7_8_wgs_104_tpt_104_halfLds_dp_op_CI_CI_sbrr_dirReg
	.p2align	8
	.type	fft_rtc_back_len728_factors_13_7_8_wgs_104_tpt_104_halfLds_dp_op_CI_CI_sbrr_dirReg,@function
fft_rtc_back_len728_factors_13_7_8_wgs_104_tpt_104_halfLds_dp_op_CI_CI_sbrr_dirReg: ; @fft_rtc_back_len728_factors_13_7_8_wgs_104_tpt_104_halfLds_dp_op_CI_CI_sbrr_dirReg
; %bb.0:
	s_clause 0x2
	s_load_dwordx4 s[16:19], s[4:5], 0x18
	s_load_dwordx4 s[12:15], s[4:5], 0x0
	;; [unrolled: 1-line block ×3, first 2 shown]
	v_mul_u32_u24_e32 v1, 0x277, v0
	v_mov_b32_e32 v3, 0
	s_waitcnt lgkmcnt(0)
	s_load_dwordx2 s[20:21], s[16:17], 0x0
	s_load_dwordx2 s[2:3], s[18:19], 0x0
	v_cmp_lt_u64_e64 s0, s[14:15], 2
	v_add_nc_u32_sdwa v5, s6, v1 dst_sel:DWORD dst_unused:UNUSED_PAD src0_sel:DWORD src1_sel:WORD_1
	v_mov_b32_e32 v1, 0
	v_mov_b32_e32 v6, v3
	;; [unrolled: 1-line block ×3, first 2 shown]
	s_and_b32 vcc_lo, exec_lo, s0
	s_cbranch_vccnz .LBB0_8
; %bb.1:
	s_load_dwordx2 s[0:1], s[4:5], 0x10
	v_mov_b32_e32 v1, 0
	v_mov_b32_e32 v2, 0
	s_add_u32 s6, s18, 8
	s_addc_u32 s7, s19, 0
	s_add_u32 s22, s16, 8
	s_addc_u32 s23, s17, 0
	v_mov_b32_e32 v69, v2
	v_mov_b32_e32 v68, v1
	s_mov_b64 s[26:27], 1
	s_waitcnt lgkmcnt(0)
	s_add_u32 s24, s0, 8
	s_addc_u32 s25, s1, 0
.LBB0_2:                                ; =>This Inner Loop Header: Depth=1
	s_load_dwordx2 s[28:29], s[24:25], 0x0
                                        ; implicit-def: $vgpr70_vgpr71
	s_mov_b32 s0, exec_lo
	s_waitcnt lgkmcnt(0)
	v_or_b32_e32 v4, s29, v6
	v_cmpx_ne_u64_e32 0, v[3:4]
	s_xor_b32 s1, exec_lo, s0
	s_cbranch_execz .LBB0_4
; %bb.3:                                ;   in Loop: Header=BB0_2 Depth=1
	v_cvt_f32_u32_e32 v4, s28
	v_cvt_f32_u32_e32 v7, s29
	s_sub_u32 s0, 0, s28
	s_subb_u32 s30, 0, s29
	v_fmac_f32_e32 v4, 0x4f800000, v7
	v_rcp_f32_e32 v4, v4
	v_mul_f32_e32 v4, 0x5f7ffffc, v4
	v_mul_f32_e32 v7, 0x2f800000, v4
	v_trunc_f32_e32 v7, v7
	v_fmac_f32_e32 v4, 0xcf800000, v7
	v_cvt_u32_f32_e32 v7, v7
	v_cvt_u32_f32_e32 v4, v4
	v_mul_lo_u32 v8, s0, v7
	v_mul_hi_u32 v9, s0, v4
	v_mul_lo_u32 v10, s30, v4
	v_add_nc_u32_e32 v8, v9, v8
	v_mul_lo_u32 v9, s0, v4
	v_add_nc_u32_e32 v8, v8, v10
	v_mul_hi_u32 v10, v4, v9
	v_mul_lo_u32 v11, v4, v8
	v_mul_hi_u32 v12, v4, v8
	v_mul_hi_u32 v13, v7, v9
	v_mul_lo_u32 v9, v7, v9
	v_mul_hi_u32 v14, v7, v8
	v_mul_lo_u32 v8, v7, v8
	v_add_co_u32 v10, vcc_lo, v10, v11
	v_add_co_ci_u32_e32 v11, vcc_lo, 0, v12, vcc_lo
	v_add_co_u32 v9, vcc_lo, v10, v9
	v_add_co_ci_u32_e32 v9, vcc_lo, v11, v13, vcc_lo
	v_add_co_ci_u32_e32 v10, vcc_lo, 0, v14, vcc_lo
	v_add_co_u32 v8, vcc_lo, v9, v8
	v_add_co_ci_u32_e32 v9, vcc_lo, 0, v10, vcc_lo
	v_add_co_u32 v4, vcc_lo, v4, v8
	v_add_co_ci_u32_e32 v7, vcc_lo, v7, v9, vcc_lo
	v_mul_hi_u32 v8, s0, v4
	v_mul_lo_u32 v10, s30, v4
	v_mul_lo_u32 v9, s0, v7
	v_add_nc_u32_e32 v8, v8, v9
	v_mul_lo_u32 v9, s0, v4
	v_add_nc_u32_e32 v8, v8, v10
	v_mul_hi_u32 v10, v4, v9
	v_mul_lo_u32 v11, v4, v8
	v_mul_hi_u32 v12, v4, v8
	v_mul_hi_u32 v13, v7, v9
	v_mul_lo_u32 v9, v7, v9
	v_mul_hi_u32 v14, v7, v8
	v_mul_lo_u32 v8, v7, v8
	v_add_co_u32 v10, vcc_lo, v10, v11
	v_add_co_ci_u32_e32 v11, vcc_lo, 0, v12, vcc_lo
	v_add_co_u32 v9, vcc_lo, v10, v9
	v_add_co_ci_u32_e32 v9, vcc_lo, v11, v13, vcc_lo
	v_add_co_ci_u32_e32 v10, vcc_lo, 0, v14, vcc_lo
	v_add_co_u32 v8, vcc_lo, v9, v8
	v_add_co_ci_u32_e32 v9, vcc_lo, 0, v10, vcc_lo
	v_add_co_u32 v4, vcc_lo, v4, v8
	v_add_co_ci_u32_e32 v11, vcc_lo, v7, v9, vcc_lo
	v_mul_hi_u32 v13, v5, v4
	v_mad_u64_u32 v[9:10], null, v6, v4, 0
	v_mad_u64_u32 v[7:8], null, v5, v11, 0
	v_mad_u64_u32 v[11:12], null, v6, v11, 0
	v_add_co_u32 v4, vcc_lo, v13, v7
	v_add_co_ci_u32_e32 v7, vcc_lo, 0, v8, vcc_lo
	v_add_co_u32 v4, vcc_lo, v4, v9
	v_add_co_ci_u32_e32 v4, vcc_lo, v7, v10, vcc_lo
	v_add_co_ci_u32_e32 v7, vcc_lo, 0, v12, vcc_lo
	v_add_co_u32 v4, vcc_lo, v4, v11
	v_add_co_ci_u32_e32 v9, vcc_lo, 0, v7, vcc_lo
	v_mul_lo_u32 v10, s29, v4
	v_mad_u64_u32 v[7:8], null, s28, v4, 0
	v_mul_lo_u32 v11, s28, v9
	v_sub_co_u32 v7, vcc_lo, v5, v7
	v_add3_u32 v8, v8, v11, v10
	v_sub_nc_u32_e32 v10, v6, v8
	v_subrev_co_ci_u32_e64 v10, s0, s29, v10, vcc_lo
	v_add_co_u32 v11, s0, v4, 2
	v_add_co_ci_u32_e64 v12, s0, 0, v9, s0
	v_sub_co_u32 v13, s0, v7, s28
	v_sub_co_ci_u32_e32 v8, vcc_lo, v6, v8, vcc_lo
	v_subrev_co_ci_u32_e64 v10, s0, 0, v10, s0
	v_cmp_le_u32_e32 vcc_lo, s28, v13
	v_cmp_eq_u32_e64 s0, s29, v8
	v_cndmask_b32_e64 v13, 0, -1, vcc_lo
	v_cmp_le_u32_e32 vcc_lo, s29, v10
	v_cndmask_b32_e64 v14, 0, -1, vcc_lo
	v_cmp_le_u32_e32 vcc_lo, s28, v7
	;; [unrolled: 2-line block ×3, first 2 shown]
	v_cndmask_b32_e64 v15, 0, -1, vcc_lo
	v_cmp_eq_u32_e32 vcc_lo, s29, v10
	v_cndmask_b32_e64 v7, v15, v7, s0
	v_cndmask_b32_e32 v10, v14, v13, vcc_lo
	v_add_co_u32 v13, vcc_lo, v4, 1
	v_add_co_ci_u32_e32 v14, vcc_lo, 0, v9, vcc_lo
	v_cmp_ne_u32_e32 vcc_lo, 0, v10
	v_cndmask_b32_e32 v8, v14, v12, vcc_lo
	v_cndmask_b32_e32 v10, v13, v11, vcc_lo
	v_cmp_ne_u32_e32 vcc_lo, 0, v7
	v_cndmask_b32_e32 v71, v9, v8, vcc_lo
	v_cndmask_b32_e32 v70, v4, v10, vcc_lo
.LBB0_4:                                ;   in Loop: Header=BB0_2 Depth=1
	s_andn2_saveexec_b32 s0, s1
	s_cbranch_execz .LBB0_6
; %bb.5:                                ;   in Loop: Header=BB0_2 Depth=1
	v_cvt_f32_u32_e32 v4, s28
	s_sub_i32 s1, 0, s28
	v_mov_b32_e32 v71, v3
	v_rcp_iflag_f32_e32 v4, v4
	v_mul_f32_e32 v4, 0x4f7ffffe, v4
	v_cvt_u32_f32_e32 v4, v4
	v_mul_lo_u32 v7, s1, v4
	v_mul_hi_u32 v7, v4, v7
	v_add_nc_u32_e32 v4, v4, v7
	v_mul_hi_u32 v4, v5, v4
	v_mul_lo_u32 v7, v4, s28
	v_add_nc_u32_e32 v8, 1, v4
	v_sub_nc_u32_e32 v7, v5, v7
	v_subrev_nc_u32_e32 v9, s28, v7
	v_cmp_le_u32_e32 vcc_lo, s28, v7
	v_cndmask_b32_e32 v7, v7, v9, vcc_lo
	v_cndmask_b32_e32 v4, v4, v8, vcc_lo
	v_cmp_le_u32_e32 vcc_lo, s28, v7
	v_add_nc_u32_e32 v8, 1, v4
	v_cndmask_b32_e32 v70, v4, v8, vcc_lo
.LBB0_6:                                ;   in Loop: Header=BB0_2 Depth=1
	s_or_b32 exec_lo, exec_lo, s0
	v_mul_lo_u32 v4, v71, s28
	v_mul_lo_u32 v9, v70, s29
	s_load_dwordx2 s[0:1], s[22:23], 0x0
	v_mad_u64_u32 v[7:8], null, v70, s28, 0
	s_load_dwordx2 s[28:29], s[6:7], 0x0
	s_add_u32 s26, s26, 1
	s_addc_u32 s27, s27, 0
	s_add_u32 s6, s6, 8
	s_addc_u32 s7, s7, 0
	s_add_u32 s22, s22, 8
	v_add3_u32 v4, v8, v9, v4
	v_sub_co_u32 v5, vcc_lo, v5, v7
	s_addc_u32 s23, s23, 0
	s_add_u32 s24, s24, 8
	v_sub_co_ci_u32_e32 v4, vcc_lo, v6, v4, vcc_lo
	s_addc_u32 s25, s25, 0
	s_waitcnt lgkmcnt(0)
	v_mul_lo_u32 v6, s0, v4
	v_mul_lo_u32 v7, s1, v5
	v_mad_u64_u32 v[1:2], null, s0, v5, v[1:2]
	v_mul_lo_u32 v4, s28, v4
	v_mul_lo_u32 v8, s29, v5
	v_mad_u64_u32 v[68:69], null, s28, v5, v[68:69]
	v_cmp_ge_u64_e64 s0, s[26:27], s[14:15]
	v_add3_u32 v2, v7, v2, v6
	v_add3_u32 v69, v8, v69, v4
	s_and_b32 vcc_lo, exec_lo, s0
	s_cbranch_vccnz .LBB0_9
; %bb.7:                                ;   in Loop: Header=BB0_2 Depth=1
	v_mov_b32_e32 v5, v70
	v_mov_b32_e32 v6, v71
	s_branch .LBB0_2
.LBB0_8:
	v_mov_b32_e32 v69, v2
	v_mov_b32_e32 v71, v6
	;; [unrolled: 1-line block ×4, first 2 shown]
.LBB0_9:
	s_load_dwordx2 s[0:1], s[4:5], 0x28
	v_mul_hi_u32 v3, 0x2762763, v0
	s_lshl_b64 s[6:7], s[14:15], 3
                                        ; implicit-def: $vgpr46_vgpr47
                                        ; implicit-def: $vgpr50_vgpr51
                                        ; implicit-def: $vgpr42_vgpr43
                                        ; implicit-def: $vgpr38_vgpr39
                                        ; implicit-def: $vgpr10_vgpr11
                                        ; implicit-def: $vgpr14_vgpr15
                                        ; implicit-def: $vgpr18_vgpr19
                                        ; implicit-def: $vgpr26_vgpr27
                                        ; implicit-def: $vgpr34_vgpr35
                                        ; implicit-def: $vgpr30_vgpr31
                                        ; implicit-def: $vgpr22_vgpr23
                                        ; implicit-def: $vgpr54_vgpr55
                                        ; implicit-def: $vgpr6_vgpr7
	s_add_u32 s4, s18, s6
	s_addc_u32 s5, s19, s7
	v_mul_u32_u24_e32 v3, 0x68, v3
	v_sub_nc_u32_e32 v94, v0, v3
	s_waitcnt lgkmcnt(0)
	v_cmp_gt_u64_e32 vcc_lo, s[0:1], v[70:71]
	v_cmp_gt_u32_e64 s0, 56, v94
	s_and_b32 s1, vcc_lo, s0
	s_and_saveexec_b32 s14, s1
	s_cbranch_execz .LBB0_11
; %bb.10:
	s_add_u32 s6, s16, s6
	s_addc_u32 s7, s17, s7
	v_mad_u64_u32 v[3:4], null, s20, v94, 0
	s_load_dwordx2 s[6:7], s[6:7], 0x0
	v_add_nc_u32_e32 v16, 56, v94
	v_add_nc_u32_e32 v17, 0x70, v94
	;; [unrolled: 1-line block ×5, first 2 shown]
	v_mad_u64_u32 v[5:6], null, s20, v16, 0
	v_mov_b32_e32 v0, v4
	v_mad_u64_u32 v[8:9], null, s20, v17, 0
	v_mad_u64_u32 v[12:13], null, s20, v18, 0
	;; [unrolled: 1-line block ×3, first 2 shown]
	v_lshlrev_b64 v[0:1], 4, v[1:2]
	v_mov_b32_e32 v2, v6
	v_mov_b32_e32 v6, v9
	v_add_nc_u32_e32 v24, 0x230, v94
	v_add_nc_u32_e32 v32, 0x268, v94
	s_waitcnt lgkmcnt(0)
	v_mul_lo_u32 v4, s7, v70
	v_mul_lo_u32 v7, s6, v71
	v_mad_u64_u32 v[10:11], null, s6, v70, 0
	v_add_nc_u32_e32 v33, 0x2a0, v94
	v_add3_u32 v11, v11, v7, v4
	v_mov_b32_e32 v7, v13
	v_mov_b32_e32 v4, v14
	v_mad_u64_u32 v[13:14], null, s21, v16, v[2:3]
	v_lshlrev_b64 v[9:10], 4, v[10:11]
	v_mad_u64_u32 v[14:15], null, s21, v17, v[6:7]
	v_lshlrev_b64 v[2:3], 4, v[3:4]
	v_mad_u64_u32 v[15:16], null, s20, v19, 0
	v_add_co_u32 v4, s1, s8, v9
	v_add_co_ci_u32_e64 v9, s1, s9, v10, s1
	v_mov_b32_e32 v6, v13
	v_add_co_u32 v26, s1, v4, v0
	v_add_co_ci_u32_e64 v27, s1, v9, v1, s1
	v_lshlrev_b64 v[0:1], 4, v[5:6]
	v_add_co_u32 v2, s1, v26, v2
	v_add_co_ci_u32_e64 v3, s1, v27, v3, s1
	v_mad_u64_u32 v[10:11], null, s21, v18, v[7:8]
	v_add_co_u32 v0, s1, v26, v0
	v_add_co_ci_u32_e64 v1, s1, v27, v1, s1
	s_clause 0x1
	global_load_dwordx4 v[4:7], v[2:3], off
	global_load_dwordx4 v[44:47], v[0:1], off
	v_mov_b32_e32 v9, v14
	v_add_nc_u32_e32 v14, 0x118, v94
	v_mov_b32_e32 v2, v16
	v_mov_b32_e32 v13, v10
	v_lshlrev_b64 v[0:1], 4, v[8:9]
	v_mad_u64_u32 v[8:9], null, s20, v14, 0
	v_mad_u64_u32 v[2:3], null, s21, v19, v[2:3]
	v_lshlrev_b64 v[10:11], 4, v[12:13]
	v_mad_u64_u32 v[12:13], null, s20, v20, 0
	v_add_nc_u32_e32 v19, 0x188, v94
	v_mov_b32_e32 v3, v9
	v_add_co_u32 v0, s1, v26, v0
	v_add_co_ci_u32_e64 v1, s1, v27, v1, s1
	v_add_co_u32 v9, s1, v26, v10
	v_mov_b32_e32 v16, v2
	v_mad_u64_u32 v[17:18], null, s20, v19, 0
	v_add_co_ci_u32_e64 v10, s1, v27, v11, s1
	s_clause 0x1
	global_load_dwordx4 v[52:55], v[0:1], off
	global_load_dwordx4 v[48:51], v[9:10], off
	v_lshlrev_b64 v[0:1], 4, v[15:16]
	v_add_co_u32 v0, s1, v26, v0
	v_add_co_ci_u32_e64 v1, s1, v27, v1, s1
	s_waitcnt vmcnt(3)
	v_mad_u64_u32 v[2:3], null, s21, v14, v[3:4]
	v_mov_b32_e32 v3, v13
	v_mad_u64_u32 v[14:15], null, s20, v24, 0
	v_mad_u64_u32 v[10:11], null, s21, v20, v[3:4]
	v_mov_b32_e32 v9, v2
	v_mov_b32_e32 v2, v18
	v_lshlrev_b64 v[8:9], 4, v[8:9]
	v_mad_u64_u32 v[2:3], null, s21, v19, v[2:3]
	v_mov_b32_e32 v13, v10
	v_or_b32_e32 v3, 0x1c0, v94
	v_add_co_u32 v8, s1, v26, v8
	v_lshlrev_b64 v[10:11], 4, v[12:13]
	v_mad_u64_u32 v[12:13], null, s20, v3, 0
	v_mov_b32_e32 v18, v2
	v_add_co_ci_u32_e64 v9, s1, v27, v9, s1
	s_clause 0x1
	global_load_dwordx4 v[40:43], v[0:1], off
	global_load_dwordx4 v[20:23], v[8:9], off
	v_mov_b32_e32 v2, v13
	v_lshlrev_b64 v[8:9], 4, v[17:18]
	v_add_nc_u32_e32 v18, 0x1f8, v94
	v_add_co_u32 v0, s1, v26, v10
	v_add_co_ci_u32_e64 v1, s1, v27, v11, s1
	v_mad_u64_u32 v[2:3], null, s21, v3, v[2:3]
	v_mad_u64_u32 v[10:11], null, s20, v18, 0
	;; [unrolled: 1-line block ×3, first 2 shown]
	v_mov_b32_e32 v3, v15
	v_add_co_u32 v8, s1, v26, v8
	v_mov_b32_e32 v13, v2
	v_mov_b32_e32 v2, v11
	v_add_co_ci_u32_e64 v9, s1, v27, v9, s1
	s_clause 0x1
	global_load_dwordx4 v[36:39], v[0:1], off
	global_load_dwordx4 v[28:31], v[8:9], off
	v_mad_u64_u32 v[18:19], null, s21, v18, v[2:3]
	v_mad_u64_u32 v[2:3], null, s21, v24, v[3:4]
	;; [unrolled: 1-line block ×3, first 2 shown]
	v_mov_b32_e32 v0, v17
	v_lshlrev_b64 v[8:9], 4, v[12:13]
	v_mov_b32_e32 v11, v18
	v_mov_b32_e32 v15, v2
	v_mad_u64_u32 v[0:1], null, s21, v32, v[0:1]
	v_mov_b32_e32 v1, v25
	v_add_co_u32 v2, s1, v26, v8
	v_add_co_ci_u32_e64 v3, s1, v27, v9, s1
	v_lshlrev_b64 v[8:9], 4, v[10:11]
	v_mad_u64_u32 v[10:11], null, s21, v33, v[1:2]
	v_lshlrev_b64 v[11:12], 4, v[14:15]
	v_mov_b32_e32 v17, v0
	v_add_co_u32 v0, s1, v26, v8
	v_add_co_ci_u32_e64 v1, s1, v27, v9, s1
	v_mov_b32_e32 v25, v10
	v_lshlrev_b64 v[8:9], 4, v[16:17]
	v_add_co_u32 v10, s1, v26, v11
	v_add_co_ci_u32_e64 v11, s1, v27, v12, s1
	v_lshlrev_b64 v[12:13], 4, v[24:25]
	v_add_co_u32 v8, s1, v26, v8
	v_add_co_ci_u32_e64 v9, s1, v27, v9, s1
	v_add_co_u32 v56, s1, v26, v12
	v_add_co_ci_u32_e64 v57, s1, v27, v13, s1
	s_clause 0x4
	global_load_dwordx4 v[32:35], v[2:3], off
	global_load_dwordx4 v[24:27], v[0:1], off
	;; [unrolled: 1-line block ×5, first 2 shown]
.LBB0_11:
	s_or_b32 exec_lo, exec_lo, s14
	s_waitcnt vmcnt(0)
	v_add_f64 v[0:1], v[46:47], -v[10:11]
	s_mov_b32 s16, 0x4bc48dbf
	s_mov_b32 s17, 0xbfcea1e5
	v_add_f64 v[80:81], v[44:45], v[8:9]
	v_add_f64 v[60:61], v[54:55], -v[14:15]
	s_mov_b32 s6, 0x93053d00
	s_mov_b32 s20, 0x4267c47c
	s_mov_b32 s7, 0xbfef11f4
	s_mov_b32 s21, 0x3fddbe06
	v_add_f64 v[78:79], v[12:13], v[52:53]
	v_add_f64 v[62:63], v[50:51], -v[18:19]
	s_mov_b32 s8, 0xe00740e9
	s_mov_b32 s24, 0x24c2f84
	s_mov_b32 s9, 0x3fec55a7
	s_mov_b32 s25, 0xbfe5384d
	v_add_f64 v[74:75], v[48:49], v[16:17]
	v_add_f64 v[66:67], v[42:43], -v[26:27]
	s_mov_b32 s14, 0xd0032e0c
	s_mov_b32 s28, 0x42a4c3d2
	s_mov_b32 s15, 0xbfe7f3cc
	s_mov_b32 s29, 0x3fea55e2
	v_add_f64 v[76:77], v[40:41], v[24:25]
	v_mul_f64 v[92:93], v[0:1], s[16:17]
	v_add_f64 v[56:57], v[22:23], -v[34:35]
	s_mov_b32 s18, 0x1ea71119
	s_mov_b32 s30, 0x2ef20147
	v_mul_f64 v[84:85], v[60:61], s[20:21]
	s_mov_b32 s19, 0x3fe22d96
	s_mov_b32 s31, 0xbfedeba7
	v_add_f64 v[72:73], v[32:33], v[20:21]
	s_mov_b32 s22, 0xb2365da1
	s_mov_b32 s34, 0x66966769
	v_mul_f64 v[82:83], v[62:63], s[24:25]
	s_mov_b32 s23, 0xbfd6b1d8
	s_mov_b32 s35, 0x3fefc445
	;; [unrolled: 1-line block ×4, first 2 shown]
	v_mul_f64 v[86:87], v[66:67], s[28:29]
	v_fma_f64 v[2:3], v[80:81], s[6:7], -v[92:93]
	v_mul_f64 v[88:89], v[56:57], s[30:31]
	v_fma_f64 v[58:59], v[78:79], s[8:9], -v[84:85]
	v_fma_f64 v[64:65], v[74:75], s[14:15], -v[82:83]
	;; [unrolled: 1-line block ×3, first 2 shown]
	v_add_f64 v[2:3], v[2:3], v[4:5]
	v_fma_f64 v[95:96], v[72:73], s[22:23], -v[88:89]
	v_add_f64 v[2:3], v[58:59], v[2:3]
	v_add_f64 v[58:59], v[38:39], -v[30:31]
	v_add_f64 v[2:3], v[64:65], v[2:3]
	v_add_f64 v[64:65], v[36:37], v[28:29]
	;; [unrolled: 1-line block ×3, first 2 shown]
	v_mul_f64 v[90:91], v[58:59], s[34:35]
	v_add_f64 v[2:3], v[95:96], v[2:3]
	v_fma_f64 v[95:96], v[64:65], s[26:27], -v[90:91]
	v_add_f64 v[2:3], v[95:96], v[2:3]
	s_and_saveexec_b32 s1, s0
	s_cbranch_execz .LBB0_13
; %bb.12:
	v_mul_f64 v[95:96], v[80:81], s[6:7]
	v_mul_f64 v[97:98], v[80:81], s[14:15]
	;; [unrolled: 1-line block ×4, first 2 shown]
	s_mov_b32 s37, 0x3fe5384d
	s_mov_b32 s36, s24
	s_mov_b32 s39, 0x3fedeba7
	s_mov_b32 s38, s30
	v_mul_f64 v[107:108], v[78:79], s[8:9]
	v_mul_f64 v[111:112], v[80:81], s[18:19]
	;; [unrolled: 1-line block ×6, first 2 shown]
	s_mov_b32 s41, 0xbfefc445
	s_mov_b32 s40, s34
	s_mov_b32 s45, 0xbfea55e2
	s_mov_b32 s44, s28
	s_mov_b32 s43, 0x3fcea1e5
	s_mov_b32 s42, s16
	v_mul_f64 v[103:104], v[64:65], s[26:27]
	v_mul_f64 v[105:106], v[72:73], s[22:23]
	v_add_f64 v[92:93], v[92:93], v[95:96]
	v_fma_f64 v[95:96], v[0:1], s[36:37], v[97:98]
	v_fma_f64 v[97:98], v[0:1], s[24:25], v[97:98]
	v_fma_f64 v[119:120], v[0:1], s[38:39], v[99:100]
	v_fma_f64 v[99:100], v[0:1], s[30:31], v[99:100]
	v_fma_f64 v[123:124], v[0:1], s[34:35], v[101:102]
	v_mul_f64 v[109:110], v[74:75], s[14:15]
	v_mul_f64 v[113:114], v[76:77], s[18:19]
	;; [unrolled: 1-line block ×3, first 2 shown]
	v_fma_f64 v[101:102], v[0:1], s[40:41], v[101:102]
	v_fma_f64 v[127:128], v[0:1], s[28:29], v[111:112]
	;; [unrolled: 1-line block ×3, first 2 shown]
	v_add_f64 v[84:85], v[84:85], v[107:108]
	v_fma_f64 v[107:108], v[60:61], s[40:41], v[115:116]
	v_fma_f64 v[115:116], v[60:61], s[34:35], v[115:116]
	;; [unrolled: 1-line block ×5, first 2 shown]
	v_mul_f64 v[78:79], v[78:79], s[18:19]
	v_fma_f64 v[135:136], v[0:1], s[20:21], v[80:81]
	v_mul_f64 v[129:130], v[74:75], s[18:19]
	v_fma_f64 v[121:122], v[60:61], s[16:17], v[121:122]
	v_add_f64 v[92:93], v[92:93], v[4:5]
	v_add_f64 v[95:96], v[95:96], v[4:5]
	;; [unrolled: 1-line block ×6, first 2 shown]
	v_mul_f64 v[139:140], v[74:75], s[8:9]
	v_add_f64 v[90:91], v[90:91], v[103:104]
	v_fma_f64 v[137:138], v[60:61], s[38:39], v[125:126]
	v_add_f64 v[101:102], v[101:102], v[4:5]
	v_add_f64 v[127:128], v[127:128], v[4:5]
	v_fma_f64 v[125:126], v[60:61], s[30:31], v[125:126]
	v_add_f64 v[111:112], v[111:112], v[4:5]
	v_mul_f64 v[103:104], v[74:75], s[22:23]
	v_add_f64 v[88:89], v[88:89], v[105:106]
	v_mul_f64 v[105:106], v[74:75], s[6:7]
	v_add_f64 v[86:87], v[86:87], v[113:114]
	v_add_f64 v[82:83], v[82:83], v[109:110]
	v_mul_f64 v[113:114], v[76:77], s[26:27]
	v_mul_f64 v[74:75], v[74:75], s[26:27]
	s_mov_b32 s47, 0xbfddbe06
	s_mov_b32 s46, s20
	v_add_f64 v[84:85], v[84:85], v[92:93]
	v_add_f64 v[92:93], v[107:108], v[95:96]
	;; [unrolled: 1-line block ×5, first 2 shown]
	v_mul_f64 v[107:108], v[76:77], s[6:7]
	v_add_f64 v[109:110], v[133:134], v[123:124]
	v_add_f64 v[115:116], v[135:136], v[4:5]
	v_fma_f64 v[117:118], v[60:61], s[28:29], v[78:79]
	v_mul_f64 v[119:120], v[76:77], s[8:9]
	v_mul_f64 v[123:124], v[76:77], s[14:15]
	;; [unrolled: 1-line block ×3, first 2 shown]
	v_add_f64 v[101:102], v[121:122], v[101:102]
	v_add_f64 v[121:122], v[137:138], v[127:128]
	;; [unrolled: 1-line block ×3, first 2 shown]
	v_fma_f64 v[125:126], v[62:63], s[28:29], v[129:130]
	v_fma_f64 v[127:128], v[62:63], s[44:45], v[129:130]
	;; [unrolled: 1-line block ×15, first 2 shown]
	v_add_f64 v[115:116], v[117:118], v[115:116]
	v_fma_f64 v[117:118], v[66:67], s[46:47], v[119:120]
	v_fma_f64 v[119:120], v[66:67], s[20:21], v[119:120]
	;; [unrolled: 1-line block ×7, first 2 shown]
	v_add_f64 v[76:77], v[44:45], v[4:5]
	v_add_f64 v[95:96], v[127:128], v[95:96]
	;; [unrolled: 1-line block ×8, first 2 shown]
	v_mul_f64 v[127:128], v[64:65], s[22:23]
	v_add_f64 v[0:1], v[0:1], v[4:5]
	v_mul_f64 v[129:130], v[64:65], s[18:19]
	v_mul_f64 v[131:132], v[64:65], s[14:15]
	v_add_f64 v[76:77], v[52:53], v[76:77]
	v_add_f64 v[99:100], v[113:114], v[99:100]
	;; [unrolled: 1-line block ×4, first 2 shown]
	v_mul_f64 v[60:61], v[72:73], s[8:9]
	v_fma_f64 v[113:114], v[58:59], s[36:37], v[131:132]
	v_add_f64 v[76:77], v[48:49], v[76:77]
	v_add_f64 v[0:1], v[62:63], v[0:1]
	;; [unrolled: 1-line block ×3, first 2 shown]
	v_fma_f64 v[103:104], v[56:57], s[46:47], v[60:61]
	v_fma_f64 v[60:61], v[56:57], s[20:21], v[60:61]
	v_add_f64 v[76:77], v[40:41], v[76:77]
	v_add_f64 v[0:1], v[66:67], v[0:1]
	;; [unrolled: 1-line block ×3, first 2 shown]
	v_fma_f64 v[66:67], v[58:59], s[38:39], v[127:128]
	v_fma_f64 v[74:75], v[58:59], s[30:31], v[127:128]
	v_add_f64 v[76:77], v[20:21], v[76:77]
	v_add_f64 v[76:77], v[36:37], v[76:77]
	;; [unrolled: 1-line block ×4, first 2 shown]
	v_mul_f64 v[82:83], v[72:73], s[6:7]
	v_add_f64 v[84:85], v[125:126], v[92:93]
	v_mul_f64 v[92:93], v[72:73], s[18:19]
	v_mul_f64 v[125:126], v[72:73], s[26:27]
	;; [unrolled: 1-line block ×3, first 2 shown]
	v_add_f64 v[4:5], v[32:33], v[4:5]
	v_add_f64 v[76:77], v[86:87], v[76:77]
	v_fma_f64 v[111:112], v[56:57], s[16:17], v[82:83]
	v_fma_f64 v[82:83], v[56:57], s[42:43], v[82:83]
	;; [unrolled: 1-line block ×8, first 2 shown]
	v_mul_f64 v[72:73], v[64:65], s[8:9]
	v_mul_f64 v[64:65], v[64:65], s[6:7]
	v_add_f64 v[86:87], v[107:108], v[95:96]
	v_add_f64 v[95:96], v[139:140], v[97:98]
	;; [unrolled: 1-line block ×6, first 2 shown]
	v_fma_f64 v[107:108], v[58:59], s[44:45], v[129:130]
	v_fma_f64 v[109:110], v[58:59], s[28:29], v[129:130]
	;; [unrolled: 1-line block ×3, first 2 shown]
	v_add_f64 v[4:5], v[24:25], v[4:5]
	v_add_f64 v[82:83], v[82:83], v[99:100]
	;; [unrolled: 1-line block ×4, first 2 shown]
	v_fma_f64 v[119:120], v[58:59], s[46:47], v[72:73]
	v_fma_f64 v[72:73], v[58:59], s[20:21], v[72:73]
	v_fma_f64 v[121:122], v[58:59], s[42:43], v[64:65]
	v_fma_f64 v[58:59], v[58:59], s[16:17], v[64:65]
	v_add_f64 v[64:65], v[88:89], v[76:77]
	v_add_f64 v[60:61], v[60:61], v[86:87]
	;; [unrolled: 1-line block ×21, first 2 shown]
	v_mad_u32_u24 v58, 0x68, v94, 0
	v_add_f64 v[4:5], v[8:9], v[4:5]
	ds_write2_b64 v58, v[72:73], v[74:75] offset0:2 offset1:3
	ds_write2_b64 v58, v[76:77], v[60:61] offset0:4 offset1:5
	;; [unrolled: 1-line block ×5, first 2 shown]
	ds_write2_b64 v58, v[4:5], v[0:1] offset1:1
	ds_write_b64 v58, v[56:57] offset:96
.LBB0_13:
	s_or_b32 exec_lo, exec_lo, s1
	v_add_f64 v[82:83], v[44:45], -v[8:9]
	v_add_f64 v[72:73], v[46:47], v[10:11]
	v_add_f64 v[76:77], v[52:53], -v[12:13]
	v_add_f64 v[52:53], v[14:15], v[54:55]
	;; [unrolled: 2-line block ×5, first 2 shown]
	v_add_f64 v[40:41], v[36:37], -v[28:29]
	v_lshl_add_u32 v84, v94, 3, 0
	s_waitcnt lgkmcnt(0)
	s_barrier
	buffer_gl0_inv
	v_add_nc_u32_e32 v85, 0x400, v84
	v_add_nc_u32_e32 v86, 0xc00, v84
	v_mul_f64 v[74:75], v[82:83], s[16:17]
	v_mul_f64 v[48:49], v[76:77], s[20:21]
	v_mul_f64 v[24:25], v[78:79], s[24:25]
	v_mul_f64 v[20:21], v[80:81], s[28:29]
	v_mul_f64 v[28:29], v[32:33], s[30:31]
	v_mul_f64 v[36:37], v[40:41], s[34:35]
	v_fma_f64 v[0:1], v[72:73], s[6:7], v[74:75]
	v_fma_f64 v[4:5], v[52:53], s[8:9], v[48:49]
	;; [unrolled: 1-line block ×4, first 2 shown]
	v_add_f64 v[0:1], v[0:1], v[6:7]
	v_add_f64 v[0:1], v[0:1], v[4:5]
	v_add_f64 v[4:5], v[38:39], v[30:31]
	v_add_f64 v[0:1], v[8:9], v[0:1]
	v_fma_f64 v[8:9], v[12:13], s[22:23], v[28:29]
	v_fma_f64 v[60:61], v[4:5], s[26:27], v[36:37]
	v_add_f64 v[0:1], v[56:57], v[0:1]
	ds_read2_b64 v[56:59], v84 offset1:104
	v_add_f64 v[0:1], v[8:9], v[0:1]
	v_add_f64 v[8:9], v[60:61], v[0:1]
	ds_read2_b64 v[64:67], v85 offset0:80 offset1:184
	ds_read2_b64 v[60:63], v86 offset0:32 offset1:136
	ds_read_b64 v[0:1], v84 offset:4992
	s_waitcnt lgkmcnt(0)
	s_barrier
	buffer_gl0_inv
	s_and_saveexec_b32 s33, s0
	s_cbranch_execz .LBB0_15
; %bb.14:
	v_add_f64 v[46:47], v[46:47], v[6:7]
	v_mul_f64 v[97:98], v[4:5], s[26:27]
	s_mov_b32 s26, 0x66966769
	v_mul_f64 v[95:96], v[12:13], s[22:23]
	s_mov_b32 s21, 0xbfddbe06
	s_mov_b32 s20, 0x4267c47c
	;; [unrolled: 1-line block ×7, first 2 shown]
	v_mul_f64 v[87:88], v[72:73], s[6:7]
	s_mov_b32 s25, 0xbfedeba7
	s_mov_b32 s29, 0xbfe5384d
	v_mul_f64 v[89:90], v[44:45], s[14:15]
	v_mul_f64 v[91:92], v[16:17], s[18:19]
	;; [unrolled: 1-line block ×5, first 2 shown]
	s_mov_b32 s0, 0xe00740e9
	s_mov_b32 s6, 0x1ea71119
	;; [unrolled: 1-line block ×3, first 2 shown]
	v_add_f64 v[46:47], v[54:55], v[46:47]
	v_mul_f64 v[54:55], v[52:53], s[8:9]
	s_mov_b32 s30, 0x4bc48dbf
	s_mov_b32 s1, 0x3fec55a7
	;; [unrolled: 1-line block ×13, first 2 shown]
	v_add_f64 v[74:75], v[87:88], -v[74:75]
	v_mul_f64 v[105:106], v[76:77], s[22:23]
	v_mul_f64 v[107:108], v[76:77], s[24:25]
	;; [unrolled: 1-line block ×5, first 2 shown]
	v_add_f64 v[24:25], v[89:90], -v[24:25]
	v_add_f64 v[46:47], v[50:51], v[46:47]
	v_mul_f64 v[50:51], v[82:83], s[20:21]
	v_mul_f64 v[82:83], v[82:83], s[28:29]
	v_add_f64 v[48:49], v[54:55], -v[48:49]
	v_add_f64 v[20:21], v[91:92], -v[20:21]
	v_fma_f64 v[87:88], v[72:73], s[6:7], -v[99:100]
	v_fma_f64 v[89:90], v[72:73], s[6:7], v[99:100]
	v_fma_f64 v[91:92], v[72:73], s[14:15], -v[101:102]
	v_add_f64 v[28:29], v[95:96], -v[28:29]
	v_add_f64 v[36:37], v[97:98], -v[36:37]
	v_fma_f64 v[95:96], v[72:73], s[8:9], -v[103:104]
	v_fma_f64 v[97:98], v[72:73], s[8:9], v[103:104]
	v_fma_f64 v[101:102], v[72:73], s[14:15], v[101:102]
	s_mov_b32 s18, 0x93053d00
	s_mov_b32 s19, 0xbfef11f4
	;; [unrolled: 1-line block ×5, first 2 shown]
	v_add_f64 v[74:75], v[74:75], v[6:7]
	v_mul_f64 v[111:112], v[78:79], s[30:31]
	v_mul_f64 v[131:132], v[78:79], s[38:39]
	v_fma_f64 v[103:104], v[52:53], s[8:9], -v[107:108]
	v_add_f64 v[42:43], v[42:43], v[46:47]
	v_fma_f64 v[54:55], v[72:73], s[0:1], -v[50:51]
	v_fma_f64 v[99:100], v[72:73], s[16:17], -v[82:83]
	v_fma_f64 v[82:83], v[72:73], s[16:17], v[82:83]
	v_mul_f64 v[46:47], v[78:79], s[26:27]
	v_fma_f64 v[141:142], v[52:53], s[16:17], -v[129:130]
	v_fma_f64 v[129:130], v[52:53], s[16:17], v[129:130]
	v_fma_f64 v[143:144], v[52:53], s[14:15], -v[76:77]
	v_mul_f64 v[113:114], v[78:79], s[22:23]
	v_mul_f64 v[78:79], v[78:79], s[20:21]
	s_mov_b32 s41, 0x3fcea1e5
	s_mov_b32 s40, s30
	v_mul_f64 v[115:116], v[80:81], s[24:25]
	v_mul_f64 v[117:118], v[80:81], s[26:27]
	;; [unrolled: 1-line block ×6, first 2 shown]
	v_add_f64 v[48:49], v[74:75], v[48:49]
	v_mul_f64 v[137:138], v[32:33], s[40:41]
	v_fma_f64 v[145:146], v[44:45], s[8:9], -v[131:132]
	v_fma_f64 v[131:132], v[44:45], s[8:9], v[131:132]
	v_add_f64 v[22:23], v[22:23], v[42:43]
	v_add_f64 v[54:55], v[54:55], v[6:7]
	v_mul_f64 v[42:43], v[80:81], s[40:41]
	v_add_f64 v[82:83], v[82:83], v[6:7]
	v_mul_f64 v[80:81], v[32:33], s[36:37]
	v_mul_f64 v[32:33], v[32:33], s[20:21]
	s_mov_b32 s23, 0x3fea55e2
	v_mul_f64 v[123:124], v[40:41], s[30:31]
	v_mul_f64 v[125:126], v[40:41], s[28:29]
	v_fma_f64 v[147:148], v[44:45], s[0:1], -v[78:79]
	v_mul_f64 v[139:140], v[40:41], s[20:21]
	v_mul_f64 v[127:128], v[40:41], s[24:25]
	;; [unrolled: 1-line block ×3, first 2 shown]
	v_add_f64 v[24:25], v[24:25], v[48:49]
	v_add_f64 v[22:23], v[38:39], v[22:23]
	v_fma_f64 v[38:39], v[72:73], s[0:1], v[50:51]
	v_fma_f64 v[50:51], v[52:53], s[6:7], -v[105:106]
	v_fma_f64 v[72:73], v[52:53], s[6:7], v[105:106]
	v_fma_f64 v[105:106], v[52:53], s[8:9], v[107:108]
	v_fma_f64 v[107:108], v[52:53], s[18:19], -v[109:110]
	v_fma_f64 v[109:110], v[52:53], s[18:19], v[109:110]
	v_fma_f64 v[52:53], v[52:53], s[14:15], v[76:77]
	v_add_f64 v[76:77], v[87:88], v[6:7]
	v_add_f64 v[87:88], v[89:90], v[6:7]
	;; [unrolled: 1-line block ×7, first 2 shown]
	v_fma_f64 v[101:102], v[44:45], s[18:19], v[111:112]
	v_add_f64 v[20:21], v[20:21], v[24:25]
	v_add_f64 v[22:23], v[30:31], v[22:23]
	;; [unrolled: 1-line block ×3, first 2 shown]
	v_fma_f64 v[30:31], v[44:45], s[14:15], -v[46:47]
	v_fma_f64 v[38:39], v[44:45], s[14:15], v[46:47]
	v_fma_f64 v[46:47], v[44:45], s[18:19], -v[111:112]
	v_add_f64 v[50:51], v[54:55], v[50:51]
	v_fma_f64 v[111:112], v[44:45], s[6:7], -v[113:114]
	v_fma_f64 v[113:114], v[44:45], s[6:7], v[113:114]
	v_add_f64 v[54:55], v[76:77], v[103:104]
	v_fma_f64 v[44:45], v[44:45], s[0:1], v[78:79]
	v_add_f64 v[76:77], v[89:90], v[107:108]
	v_add_f64 v[74:75], v[87:88], v[105:106]
	;; [unrolled: 1-line block ×7, first 2 shown]
	v_fma_f64 v[91:92], v[16:17], s[14:15], -v[117:118]
	v_fma_f64 v[95:96], v[16:17], s[14:15], v[117:118]
	v_fma_f64 v[97:98], v[16:17], s[16:17], -v[133:134]
	v_fma_f64 v[99:100], v[16:17], s[16:17], v[133:134]
	v_fma_f64 v[103:104], v[16:17], s[0:1], -v[135:136]
	v_add_f64 v[22:23], v[34:35], v[22:23]
	v_add_f64 v[6:7], v[6:7], v[72:73]
	v_fma_f64 v[34:35], v[16:17], s[8:9], -v[115:116]
	v_fma_f64 v[72:73], v[16:17], s[8:9], v[115:116]
	v_fma_f64 v[105:106], v[16:17], s[0:1], v[135:136]
	v_fma_f64 v[107:108], v[16:17], s[18:19], -v[42:43]
	v_fma_f64 v[16:17], v[16:17], s[18:19], v[42:43]
	v_add_f64 v[30:31], v[30:31], v[50:51]
	v_add_f64 v[42:43], v[46:47], v[54:55]
	;; [unrolled: 1-line block ×10, first 2 shown]
	v_fma_f64 v[76:77], v[12:13], s[6:7], -v[121:122]
	v_fma_f64 v[82:83], v[12:13], s[14:15], -v[80:81]
	v_fma_f64 v[78:79], v[12:13], s[6:7], v[121:122]
	v_fma_f64 v[80:81], v[12:13], s[14:15], v[80:81]
	v_fma_f64 v[87:88], v[12:13], s[18:19], -v[137:138]
	v_add_f64 v[22:23], v[26:27], v[22:23]
	v_add_f64 v[6:7], v[38:39], v[6:7]
	v_fma_f64 v[26:27], v[12:13], s[16:17], -v[119:120]
	v_fma_f64 v[38:39], v[12:13], s[16:17], v[119:120]
	v_fma_f64 v[89:90], v[12:13], s[18:19], v[137:138]
	v_fma_f64 v[101:102], v[12:13], s[0:1], -v[32:33]
	v_fma_f64 v[12:13], v[12:13], s[0:1], v[32:33]
	v_add_f64 v[24:25], v[34:35], v[30:31]
	v_add_f64 v[30:31], v[97:98], v[42:43]
	v_fma_f64 v[97:98], v[4:5], s[6:7], -v[40:41]
	v_add_f64 v[34:35], v[103:104], v[48:49]
	v_add_f64 v[32:33], v[99:100], v[46:47]
	;; [unrolled: 1-line block ×7, first 2 shown]
	v_fma_f64 v[52:53], v[4:5], s[16:17], -v[125:126]
	v_fma_f64 v[91:92], v[4:5], s[0:1], -v[139:140]
	v_fma_f64 v[50:51], v[4:5], s[18:19], v[123:124]
	v_fma_f64 v[54:55], v[4:5], s[16:17], v[125:126]
	;; [unrolled: 1-line block ×3, first 2 shown]
	v_add_f64 v[18:19], v[18:19], v[22:23]
	v_add_f64 v[6:7], v[72:73], v[6:7]
	v_fma_f64 v[22:23], v[4:5], s[18:19], -v[123:124]
	v_fma_f64 v[72:73], v[4:5], s[8:9], -v[127:128]
	v_fma_f64 v[95:96], v[4:5], s[0:1], v[139:140]
	v_fma_f64 v[4:5], v[4:5], s[6:7], v[40:41]
	v_add_f64 v[24:25], v[26:27], v[24:25]
	v_add_f64 v[26:27], v[82:83], v[30:31]
	;; [unrolled: 1-line block ×23, first 2 shown]
	v_mad_u32_u24 v14, 0x60, v94, v84
	ds_write2_b64 v14, v[18:19], v[8:9] offset0:6 offset1:7
	ds_write2_b64 v14, v[22:23], v[26:27] offset0:2 offset1:3
	;; [unrolled: 1-line block ×5, first 2 shown]
	ds_write2_b64 v14, v[10:11], v[20:21] offset1:1
	ds_write_b64 v14, v[6:7] offset:96
.LBB0_15:
	s_or_b32 exec_lo, exec_lo, s33
	v_and_b32_e32 v4, 0xff, v94
	v_mov_b32_e32 v5, 6
	s_load_dwordx2 s[4:5], s[4:5], 0x0
	s_waitcnt lgkmcnt(0)
	s_barrier
	v_mul_lo_u16 v4, 0x4f, v4
	buffer_gl0_inv
	s_mov_b32 s6, 0x37e14327
	s_mov_b32 s14, 0xe976ee23
	s_mov_b32 s8, 0x429ad128
	v_lshrrev_b16 v74, 10, v4
	s_mov_b32 s16, 0x36b3c0b5
	s_mov_b32 s7, 0x3fe948f6
	;; [unrolled: 1-line block ×4, first 2 shown]
	v_mul_lo_u16 v4, v74, 13
	s_mov_b32 s17, 0x3fac98ee
	s_mov_b32 s18, 0xaaaaaaaa
	;; [unrolled: 1-line block ×4, first 2 shown]
	v_sub_nc_u16 v75, v94, v4
	s_mov_b32 s19, 0xbff2aaaa
	s_mov_b32 s21, 0x3fe77f67
	s_mov_b32 s23, 0xbfe77f67
	s_mov_b32 s25, 0xbfd5d0dc
	v_mul_u32_u24_sdwa v4, v75, v5 dst_sel:DWORD dst_unused:UNUSED_PAD src0_sel:BYTE_0 src1_sel:DWORD
	s_mov_b32 s27, 0x3fd5d0dc
	s_mov_b32 s22, s20
	;; [unrolled: 1-line block ×4, first 2 shown]
	v_lshlrev_b32_e32 v4, 4, v4
	s_mov_b32 s29, 0xbfdc38aa
	v_cmp_gt_u32_e64 s0, 0x5b, v94
	s_clause 0x5
	global_load_dwordx4 v[10:13], v4, s[12:13]
	global_load_dwordx4 v[18:21], v4, s[12:13] offset:16
	global_load_dwordx4 v[22:25], v4, s[12:13] offset:80
	;; [unrolled: 1-line block ×5, first 2 shown]
	ds_read2_b64 v[4:7], v84 offset1:104
	ds_read2_b64 v[32:35], v85 offset0:80 offset1:184
	ds_read_b64 v[52:53], v84 offset:4992
	ds_read2_b64 v[48:51], v86 offset0:32 offset1:136
	s_waitcnt vmcnt(0) lgkmcnt(0)
	s_barrier
	buffer_gl0_inv
	v_mul_f64 v[14:15], v[6:7], v[12:13]
	v_mul_f64 v[16:17], v[32:33], v[20:21]
	;; [unrolled: 1-line block ×12, first 2 shown]
	v_fma_f64 v[14:15], v[58:59], v[10:11], v[14:15]
	v_fma_f64 v[26:27], v[64:65], v[18:19], v[16:17]
	;; [unrolled: 1-line block ×4, first 2 shown]
	v_fma_f64 v[6:7], v[6:7], v[10:11], -v[12:13]
	v_fma_f64 v[32:33], v[32:33], v[18:19], -v[20:21]
	v_fma_f64 v[28:29], v[66:67], v[40:41], v[54:55]
	v_fma_f64 v[34:35], v[34:35], v[40:41], -v[42:43]
	v_fma_f64 v[40:41], v[50:51], v[36:37], -v[38:39]
	v_fma_f64 v[36:37], v[60:61], v[44:45], v[72:73]
	v_fma_f64 v[38:39], v[48:49], v[44:45], -v[46:47]
	v_fma_f64 v[42:43], v[52:53], v[22:23], -v[24:25]
	v_add_f64 v[0:1], v[14:15], v[16:17]
	v_add_f64 v[12:13], v[26:27], v[30:31]
	v_add_f64 v[10:11], v[32:33], -v[40:41]
	v_add_f64 v[18:19], v[28:29], v[36:37]
	v_add_f64 v[20:21], v[38:39], -v[34:35]
	v_add_f64 v[22:23], v[6:7], -v[42:43]
	v_add_f64 v[24:25], v[12:13], v[0:1]
	v_add_f64 v[44:45], v[0:1], -v[18:19]
	v_add_f64 v[46:47], v[20:21], -v[10:11]
	;; [unrolled: 1-line block ×3, first 2 shown]
	v_add_f64 v[50:51], v[20:21], v[10:11]
	v_add_f64 v[20:21], v[22:23], -v[20:21]
	v_add_f64 v[0:1], v[12:13], -v[0:1]
	v_add_f64 v[24:25], v[18:19], v[24:25]
	v_add_f64 v[18:19], v[18:19], -v[12:13]
	v_mul_f64 v[44:45], v[44:45], s[6:7]
	v_mul_f64 v[46:47], v[46:47], s[14:15]
	;; [unrolled: 1-line block ×3, first 2 shown]
	v_add_f64 v[22:23], v[50:51], v[22:23]
	v_add_f64 v[10:11], v[56:57], v[24:25]
	v_mul_f64 v[12:13], v[18:19], s[16:17]
	v_fma_f64 v[18:19], v[18:19], s[16:17], v[44:45]
	v_fma_f64 v[50:51], v[20:21], s[24:25], v[46:47]
	v_fma_f64 v[46:47], v[48:49], s[8:9], -v[46:47]
	v_fma_f64 v[20:21], v[20:21], s[26:27], -v[52:53]
	;; [unrolled: 1-line block ×3, first 2 shown]
	v_fma_f64 v[24:25], v[24:25], s[18:19], v[10:11]
	v_fma_f64 v[0:1], v[0:1], s[20:21], -v[12:13]
	v_fma_f64 v[48:49], v[22:23], s[28:29], v[50:51]
	v_fma_f64 v[46:47], v[22:23], s[28:29], v[46:47]
	;; [unrolled: 1-line block ×3, first 2 shown]
	v_add_f64 v[50:51], v[18:19], v[24:25]
	v_add_f64 v[44:45], v[44:45], v[24:25]
	;; [unrolled: 1-line block ×5, first 2 shown]
	v_add_f64 v[24:25], v[0:1], -v[46:47]
	v_add_f64 v[18:19], v[46:47], v[0:1]
	v_add_f64 v[20:21], v[44:45], -v[20:21]
	v_add_f64 v[0:1], v[50:51], -v[48:49]
	v_mov_b32_e32 v44, 0x2d8
	v_mov_b32_e32 v45, 3
	v_mul_u32_u24_sdwa v44, v74, v44 dst_sel:DWORD dst_unused:UNUSED_PAD src0_sel:WORD_0 src1_sel:DWORD
	v_lshlrev_b32_sdwa v45, v45, v75 dst_sel:DWORD dst_unused:UNUSED_PAD src0_sel:DWORD src1_sel:BYTE_0
	v_add3_u32 v44, 0, v44, v45
	ds_write2_b64 v44, v[10:11], v[12:13] offset1:13
	ds_write2_b64 v44, v[22:23], v[24:25] offset0:26 offset1:39
	ds_write2_b64 v44, v[18:19], v[20:21] offset0:52 offset1:65
	ds_write_b64 v44, v[0:1] offset:624
	s_waitcnt lgkmcnt(0)
	s_barrier
	buffer_gl0_inv
	s_and_saveexec_b32 s1, s0
	s_cbranch_execz .LBB0_17
; %bb.16:
	v_add_nc_u32_e32 v0, 0x400, v84
	v_add_nc_u32_e32 v1, 0x800, v84
	v_add_nc_u32_e32 v2, 0x1000, v84
	ds_read2_b64 v[10:13], v84 offset1:91
	ds_read2_b64 v[22:25], v0 offset0:54 offset1:145
	ds_read2_b64 v[18:21], v1 offset0:108 offset1:199
	;; [unrolled: 1-line block ×3, first 2 shown]
.LBB0_17:
	s_or_b32 exec_lo, exec_lo, s1
	v_add_f64 v[6:7], v[6:7], v[42:43]
	v_add_f64 v[32:33], v[32:33], v[40:41]
	v_add_f64 v[26:27], v[26:27], -v[30:31]
	v_add_f64 v[30:31], v[34:35], v[38:39]
	v_add_f64 v[28:29], v[36:37], -v[28:29]
	v_add_f64 v[16:17], v[14:15], -v[16:17]
	s_waitcnt lgkmcnt(0)
	s_barrier
	buffer_gl0_inv
	v_add_f64 v[14:15], v[32:33], v[6:7]
	v_add_f64 v[34:35], v[6:7], -v[30:31]
	v_add_f64 v[36:37], v[28:29], -v[26:27]
	;; [unrolled: 1-line block ×3, first 2 shown]
	v_add_f64 v[26:27], v[28:29], v[26:27]
	v_add_f64 v[28:29], v[16:17], -v[28:29]
	v_add_f64 v[40:41], v[30:31], v[14:15]
	v_add_f64 v[30:31], v[30:31], -v[32:33]
	v_mul_f64 v[34:35], v[34:35], s[6:7]
	v_mul_f64 v[36:37], v[36:37], s[14:15]
	;; [unrolled: 1-line block ×3, first 2 shown]
	v_add_f64 v[16:17], v[26:27], v[16:17]
	v_add_f64 v[14:15], v[4:5], v[40:41]
	v_add_f64 v[4:5], v[32:33], -v[6:7]
	v_mul_f64 v[6:7], v[30:31], s[16:17]
	v_fma_f64 v[26:27], v[30:31], s[16:17], v[34:35]
	v_fma_f64 v[30:31], v[28:29], s[24:25], v[36:37]
	v_fma_f64 v[32:33], v[38:39], s[8:9], -v[36:37]
	v_fma_f64 v[28:29], v[28:29], s[26:27], -v[42:43]
	v_fma_f64 v[36:37], v[40:41], s[18:19], v[14:15]
	v_fma_f64 v[34:35], v[4:5], s[22:23], -v[34:35]
	v_fma_f64 v[4:5], v[4:5], s[20:21], -v[6:7]
	v_fma_f64 v[6:7], v[16:17], s[28:29], v[30:31]
	v_fma_f64 v[30:31], v[16:17], s[28:29], v[32:33]
	;; [unrolled: 1-line block ×3, first 2 shown]
	v_add_f64 v[38:39], v[26:27], v[36:37]
	v_add_f64 v[34:35], v[34:35], v[36:37]
	;; [unrolled: 1-line block ×3, first 2 shown]
	v_add_f64 v[16:17], v[38:39], -v[6:7]
	v_add_f64 v[26:27], v[34:35], -v[32:33]
	v_add_f64 v[28:29], v[30:31], v[4:5]
	v_add_f64 v[30:31], v[4:5], -v[30:31]
	v_add_f64 v[32:33], v[32:33], v[34:35]
	v_add_f64 v[6:7], v[6:7], v[38:39]
	ds_write2_b64 v44, v[14:15], v[16:17] offset1:13
	ds_write2_b64 v44, v[26:27], v[28:29] offset0:26 offset1:39
	ds_write2_b64 v44, v[30:31], v[32:33] offset0:52 offset1:65
	ds_write_b64 v44, v[6:7] offset:624
	s_waitcnt lgkmcnt(0)
	s_barrier
	buffer_gl0_inv
	s_and_saveexec_b32 s1, s0
	s_cbranch_execnz .LBB0_20
; %bb.18:
	s_or_b32 exec_lo, exec_lo, s1
	s_and_b32 s0, vcc_lo, s0
	s_and_saveexec_b32 s1, s0
	s_cbranch_execnz .LBB0_21
.LBB0_19:
	s_endpgm
.LBB0_20:
	v_add_nc_u32_e32 v4, 0x400, v84
	v_add_nc_u32_e32 v5, 0x800, v84
	;; [unrolled: 1-line block ×3, first 2 shown]
	ds_read2_b64 v[14:17], v84 offset1:91
	ds_read2_b64 v[26:29], v4 offset0:54 offset1:145
	ds_read2_b64 v[30:33], v5 offset0:108 offset1:199
	;; [unrolled: 1-line block ×3, first 2 shown]
	s_or_b32 exec_lo, exec_lo, s1
	s_and_b32 s0, vcc_lo, s0
	s_and_saveexec_b32 s1, s0
	s_cbranch_execz .LBB0_19
.LBB0_21:
	v_mul_u32_u24_e32 v4, 7, v94
	v_mul_lo_u32 v78, s5, v70
	v_mul_lo_u32 v79, s4, v71
	v_mad_u64_u32 v[70:71], null, s4, v70, 0
	v_lshlrev_b32_e32 v4, 4, v4
	s_mov_b32 s0, 0x667f3bcd
	s_mov_b32 s1, 0x3fe6a09e
	;; [unrolled: 1-line block ×4, first 2 shown]
	s_clause 0x6
	global_load_dwordx4 v[34:37], v4, s[12:13] offset:1296
	global_load_dwordx4 v[38:41], v4, s[12:13] offset:1264
	;; [unrolled: 1-line block ×7, first 2 shown]
	v_add3_u32 v71, v71, v79, v78
	s_waitcnt vmcnt(6)
	v_mul_f64 v[4:5], v[18:19], v[36:37]
	s_waitcnt vmcnt(5) lgkmcnt(2)
	v_mul_f64 v[62:63], v[26:27], v[40:41]
	s_waitcnt vmcnt(4) lgkmcnt(0)
	v_mul_f64 v[64:65], v[6:7], v[44:45]
	v_mul_f64 v[40:41], v[22:23], v[40:41]
	;; [unrolled: 1-line block ×3, first 2 shown]
	s_waitcnt vmcnt(3)
	v_mul_f64 v[66:67], v[12:13], v[48:49]
	s_waitcnt vmcnt(2)
	v_mul_f64 v[72:73], v[20:21], v[52:53]
	;; [unrolled: 2-line block ×4, first 2 shown]
	v_mul_f64 v[48:49], v[16:17], v[48:49]
	v_mul_f64 v[52:53], v[32:33], v[52:53]
	;; [unrolled: 1-line block ×5, first 2 shown]
	v_fma_f64 v[4:5], v[30:31], v[34:35], -v[4:5]
	v_fma_f64 v[22:23], v[22:23], v[38:39], v[62:63]
	v_fma_f64 v[0:1], v[0:1], v[42:43], v[64:65]
	v_fma_f64 v[26:27], v[26:27], v[38:39], -v[40:41]
	v_fma_f64 v[6:7], v[6:7], v[42:43], -v[44:45]
	;; [unrolled: 1-line block ×4, first 2 shown]
	v_fma_f64 v[24:25], v[24:25], v[54:55], v[74:75]
	v_fma_f64 v[2:3], v[2:3], v[58:59], v[76:77]
	;; [unrolled: 1-line block ×4, first 2 shown]
	v_fma_f64 v[28:29], v[28:29], v[54:55], -v[56:57]
	v_fma_f64 v[8:9], v[8:9], v[58:59], -v[60:61]
	v_fma_f64 v[18:19], v[18:19], v[34:35], v[36:37]
	v_add_nc_u32_e32 v58, 0x5b, v94
	v_add_nc_u32_e32 v60, 0xb6, v94
	;; [unrolled: 1-line block ×3, first 2 shown]
	v_mad_u64_u32 v[32:33], null, s2, v94, 0
	v_mad_u64_u32 v[36:37], null, s2, v58, 0
	v_lshlrev_b64 v[34:35], 4, v[68:69]
	v_add_f64 v[4:5], v[14:15], -v[4:5]
	v_mad_u64_u32 v[38:39], null, s2, v60, 0
	v_add_f64 v[0:1], v[22:23], -v[0:1]
	v_add_f64 v[6:7], v[26:27], -v[6:7]
	v_mad_u64_u32 v[40:41], null, s2, v66, 0
	v_add_f64 v[30:31], v[16:17], -v[30:31]
	v_add_f64 v[2:3], v[24:25], -v[2:3]
	v_add_nc_u32_e32 v67, 0x16c, v94
	v_add_f64 v[20:21], v[12:13], -v[20:21]
	v_add_nc_u32_e32 v68, 0x1c7, v94
	v_add_f64 v[8:9], v[28:29], -v[8:9]
	v_add_f64 v[18:19], v[10:11], -v[18:19]
	v_add_nc_u32_e32 v69, 0x222, v94
	v_add_nc_u32_e32 v72, 0x27d, v94
	v_mad_u64_u32 v[42:43], null, s2, v67, 0
	v_mad_u64_u32 v[44:45], null, s2, v68, 0
	;; [unrolled: 1-line block ×3, first 2 shown]
	v_fma_f64 v[14:15], v[14:15], 2.0, -v[4:5]
	v_mad_u64_u32 v[48:49], null, s2, v72, 0
	v_add_f64 v[50:51], v[4:5], -v[0:1]
	v_fma_f64 v[26:27], v[26:27], 2.0, -v[6:7]
	v_fma_f64 v[0:1], v[22:23], 2.0, -v[0:1]
	v_lshlrev_b64 v[22:23], 4, v[70:71]
	v_add_f64 v[52:53], v[30:31], -v[2:3]
	v_fma_f64 v[2:3], v[24:25], 2.0, -v[2:3]
	v_mov_b32_e32 v24, v39
	v_mov_b32_e32 v25, v41
	v_add_f64 v[54:55], v[20:21], v[8:9]
	v_add_f64 v[56:57], v[18:19], v[6:7]
	v_fma_f64 v[6:7], v[12:13], 2.0, -v[20:21]
	v_fma_f64 v[10:11], v[10:11], 2.0, -v[18:19]
	;; [unrolled: 1-line block ×4, first 2 shown]
	v_mad_u64_u32 v[16:17], null, s3, v94, v[33:34]
	v_mov_b32_e32 v17, v37
	v_mov_b32_e32 v28, v43
	;; [unrolled: 1-line block ×5, first 2 shown]
	v_mad_u64_u32 v[58:59], null, s3, v58, v[17:18]
	v_add_f64 v[26:27], v[14:15], -v[26:27]
	v_mad_u64_u32 v[59:60], null, s3, v60, v[24:25]
	v_fma_f64 v[60:61], v[4:5], 2.0, -v[50:51]
	v_fma_f64 v[30:31], v[30:31], 2.0, -v[52:53]
	v_fma_f64 v[20:21], v[20:21], 2.0, -v[54:55]
	v_fma_f64 v[62:63], v[18:19], 2.0, -v[56:57]
	v_add_f64 v[4:5], v[6:7], -v[2:3]
	v_add_f64 v[64:65], v[10:11], -v[0:1]
	v_mad_u64_u32 v[17:18], null, s3, v69, v[33:34]
	v_add_f64 v[8:9], v[12:13], -v[8:9]
	v_mad_u64_u32 v[18:19], null, s3, v72, v[37:38]
	v_mov_b32_e32 v33, v16
	v_mov_b32_e32 v37, v58
	;; [unrolled: 1-line block ×4, first 2 shown]
	v_lshlrev_b64 v[32:33], 4, v[32:33]
	v_mad_u64_u32 v[0:1], null, s3, v66, v[25:26]
	v_mad_u64_u32 v[1:2], null, s3, v67, v[28:29]
	;; [unrolled: 1-line block ×3, first 2 shown]
	v_fma_f64 v[68:69], v[14:15], 2.0, -v[26:27]
	v_add_co_u32 v3, vcc_lo, s10, v22
	v_fma_f64 v[72:73], v[6:7], 2.0, -v[4:5]
	v_fma_f64 v[70:71], v[10:11], 2.0, -v[64:65]
	v_fma_f64 v[28:29], v[30:31], s[4:5], v[60:61]
	v_fma_f64 v[66:67], v[20:21], s[4:5], v[62:63]
	v_fma_f64 v[12:13], v[12:13], 2.0, -v[8:9]
	v_add_co_ci_u32_e32 v19, vcc_lo, s11, v23, vcc_lo
	v_fma_f64 v[22:23], v[52:53], s[0:1], v[50:51]
	v_fma_f64 v[24:25], v[54:55], s[0:1], v[56:57]
	v_add_f64 v[6:7], v[26:27], -v[4:5]
	v_add_f64 v[4:5], v[64:65], v[8:9]
	v_add_co_u32 v74, vcc_lo, v3, v34
	v_mov_b32_e32 v41, v0
	v_mov_b32_e32 v43, v1
	;; [unrolled: 1-line block ×3, first 2 shown]
	v_add_co_ci_u32_e32 v75, vcc_lo, v19, v35, vcc_lo
	v_lshlrev_b64 v[16:17], 4, v[36:37]
	v_mov_b32_e32 v49, v18
	v_lshlrev_b64 v[18:19], 4, v[38:39]
	v_add_co_u32 v32, vcc_lo, v74, v32
	v_add_co_ci_u32_e32 v33, vcc_lo, v75, v33, vcc_lo
	v_fma_f64 v[10:11], v[20:21], s[4:5], v[28:29]
	v_add_f64 v[14:15], v[68:69], -v[12:13]
	v_add_f64 v[12:13], v[70:71], -v[72:73]
	v_fma_f64 v[8:9], v[30:31], s[0:1], v[66:67]
	v_fma_f64 v[2:3], v[54:55], s[4:5], v[22:23]
	;; [unrolled: 1-line block ×3, first 2 shown]
	v_lshlrev_b64 v[38:39], 4, v[44:45]
	v_add_co_u32 v44, vcc_lo, v74, v16
	v_add_co_ci_u32_e32 v45, vcc_lo, v75, v17, vcc_lo
	v_lshlrev_b64 v[34:35], 4, v[40:41]
	v_lshlrev_b64 v[40:41], 4, v[46:47]
	v_add_co_u32 v46, vcc_lo, v74, v18
	v_fma_f64 v[22:23], v[26:27], 2.0, -v[6:7]
	v_fma_f64 v[20:21], v[64:65], 2.0, -v[4:5]
	v_add_co_ci_u32_e32 v47, vcc_lo, v75, v19, vcc_lo
	v_lshlrev_b64 v[36:37], 4, v[42:43]
	v_add_co_u32 v34, vcc_lo, v74, v34
	v_fma_f64 v[26:27], v[60:61], 2.0, -v[10:11]
	v_fma_f64 v[30:31], v[68:69], 2.0, -v[14:15]
	v_fma_f64 v[28:29], v[70:71], 2.0, -v[12:13]
	v_fma_f64 v[24:25], v[62:63], 2.0, -v[8:9]
	v_fma_f64 v[18:19], v[50:51], 2.0, -v[2:3]
	v_fma_f64 v[16:17], v[56:57], 2.0, -v[0:1]
	v_add_co_ci_u32_e32 v35, vcc_lo, v75, v35, vcc_lo
	v_add_co_u32 v36, vcc_lo, v74, v36
	v_add_co_ci_u32_e32 v37, vcc_lo, v75, v37, vcc_lo
	v_lshlrev_b64 v[42:43], 4, v[48:49]
	v_add_co_u32 v38, vcc_lo, v74, v38
	v_add_co_ci_u32_e32 v39, vcc_lo, v75, v39, vcc_lo
	v_add_co_u32 v40, vcc_lo, v74, v40
	v_add_co_ci_u32_e32 v41, vcc_lo, v75, v41, vcc_lo
	;; [unrolled: 2-line block ×3, first 2 shown]
	global_store_dwordx4 v[32:33], v[28:31], off
	global_store_dwordx4 v[44:45], v[24:27], off
	;; [unrolled: 1-line block ×8, first 2 shown]
	s_endpgm
	.section	.rodata,"a",@progbits
	.p2align	6, 0x0
	.amdhsa_kernel fft_rtc_back_len728_factors_13_7_8_wgs_104_tpt_104_halfLds_dp_op_CI_CI_sbrr_dirReg
		.amdhsa_group_segment_fixed_size 0
		.amdhsa_private_segment_fixed_size 0
		.amdhsa_kernarg_size 104
		.amdhsa_user_sgpr_count 6
		.amdhsa_user_sgpr_private_segment_buffer 1
		.amdhsa_user_sgpr_dispatch_ptr 0
		.amdhsa_user_sgpr_queue_ptr 0
		.amdhsa_user_sgpr_kernarg_segment_ptr 1
		.amdhsa_user_sgpr_dispatch_id 0
		.amdhsa_user_sgpr_flat_scratch_init 0
		.amdhsa_user_sgpr_private_segment_size 0
		.amdhsa_wavefront_size32 1
		.amdhsa_uses_dynamic_stack 0
		.amdhsa_system_sgpr_private_segment_wavefront_offset 0
		.amdhsa_system_sgpr_workgroup_id_x 1
		.amdhsa_system_sgpr_workgroup_id_y 0
		.amdhsa_system_sgpr_workgroup_id_z 0
		.amdhsa_system_sgpr_workgroup_info 0
		.amdhsa_system_vgpr_workitem_id 0
		.amdhsa_next_free_vgpr 149
		.amdhsa_next_free_sgpr 48
		.amdhsa_reserve_vcc 1
		.amdhsa_reserve_flat_scratch 0
		.amdhsa_float_round_mode_32 0
		.amdhsa_float_round_mode_16_64 0
		.amdhsa_float_denorm_mode_32 3
		.amdhsa_float_denorm_mode_16_64 3
		.amdhsa_dx10_clamp 1
		.amdhsa_ieee_mode 1
		.amdhsa_fp16_overflow 0
		.amdhsa_workgroup_processor_mode 1
		.amdhsa_memory_ordered 1
		.amdhsa_forward_progress 0
		.amdhsa_shared_vgpr_count 0
		.amdhsa_exception_fp_ieee_invalid_op 0
		.amdhsa_exception_fp_denorm_src 0
		.amdhsa_exception_fp_ieee_div_zero 0
		.amdhsa_exception_fp_ieee_overflow 0
		.amdhsa_exception_fp_ieee_underflow 0
		.amdhsa_exception_fp_ieee_inexact 0
		.amdhsa_exception_int_div_zero 0
	.end_amdhsa_kernel
	.text
.Lfunc_end0:
	.size	fft_rtc_back_len728_factors_13_7_8_wgs_104_tpt_104_halfLds_dp_op_CI_CI_sbrr_dirReg, .Lfunc_end0-fft_rtc_back_len728_factors_13_7_8_wgs_104_tpt_104_halfLds_dp_op_CI_CI_sbrr_dirReg
                                        ; -- End function
	.section	.AMDGPU.csdata,"",@progbits
; Kernel info:
; codeLenInByte = 9084
; NumSgprs: 50
; NumVgprs: 149
; ScratchSize: 0
; MemoryBound: 1
; FloatMode: 240
; IeeeMode: 1
; LDSByteSize: 0 bytes/workgroup (compile time only)
; SGPRBlocks: 6
; VGPRBlocks: 18
; NumSGPRsForWavesPerEU: 50
; NumVGPRsForWavesPerEU: 149
; Occupancy: 6
; WaveLimiterHint : 1
; COMPUTE_PGM_RSRC2:SCRATCH_EN: 0
; COMPUTE_PGM_RSRC2:USER_SGPR: 6
; COMPUTE_PGM_RSRC2:TRAP_HANDLER: 0
; COMPUTE_PGM_RSRC2:TGID_X_EN: 1
; COMPUTE_PGM_RSRC2:TGID_Y_EN: 0
; COMPUTE_PGM_RSRC2:TGID_Z_EN: 0
; COMPUTE_PGM_RSRC2:TIDIG_COMP_CNT: 0
	.text
	.p2alignl 6, 3214868480
	.fill 48, 4, 3214868480
	.type	__hip_cuid_cb771fab314c1ec0,@object ; @__hip_cuid_cb771fab314c1ec0
	.section	.bss,"aw",@nobits
	.globl	__hip_cuid_cb771fab314c1ec0
__hip_cuid_cb771fab314c1ec0:
	.byte	0                               ; 0x0
	.size	__hip_cuid_cb771fab314c1ec0, 1

	.ident	"AMD clang version 19.0.0git (https://github.com/RadeonOpenCompute/llvm-project roc-6.4.0 25133 c7fe45cf4b819c5991fe208aaa96edf142730f1d)"
	.section	".note.GNU-stack","",@progbits
	.addrsig
	.addrsig_sym __hip_cuid_cb771fab314c1ec0
	.amdgpu_metadata
---
amdhsa.kernels:
  - .args:
      - .actual_access:  read_only
        .address_space:  global
        .offset:         0
        .size:           8
        .value_kind:     global_buffer
      - .offset:         8
        .size:           8
        .value_kind:     by_value
      - .actual_access:  read_only
        .address_space:  global
        .offset:         16
        .size:           8
        .value_kind:     global_buffer
      - .actual_access:  read_only
        .address_space:  global
        .offset:         24
        .size:           8
        .value_kind:     global_buffer
      - .actual_access:  read_only
        .address_space:  global
        .offset:         32
        .size:           8
        .value_kind:     global_buffer
      - .offset:         40
        .size:           8
        .value_kind:     by_value
      - .actual_access:  read_only
        .address_space:  global
        .offset:         48
        .size:           8
        .value_kind:     global_buffer
      - .actual_access:  read_only
        .address_space:  global
        .offset:         56
        .size:           8
        .value_kind:     global_buffer
      - .offset:         64
        .size:           4
        .value_kind:     by_value
      - .actual_access:  read_only
        .address_space:  global
        .offset:         72
        .size:           8
        .value_kind:     global_buffer
      - .actual_access:  read_only
        .address_space:  global
        .offset:         80
        .size:           8
        .value_kind:     global_buffer
      - .actual_access:  read_only
        .address_space:  global
        .offset:         88
        .size:           8
        .value_kind:     global_buffer
      - .actual_access:  write_only
        .address_space:  global
        .offset:         96
        .size:           8
        .value_kind:     global_buffer
    .group_segment_fixed_size: 0
    .kernarg_segment_align: 8
    .kernarg_segment_size: 104
    .language:       OpenCL C
    .language_version:
      - 2
      - 0
    .max_flat_workgroup_size: 104
    .name:           fft_rtc_back_len728_factors_13_7_8_wgs_104_tpt_104_halfLds_dp_op_CI_CI_sbrr_dirReg
    .private_segment_fixed_size: 0
    .sgpr_count:     50
    .sgpr_spill_count: 0
    .symbol:         fft_rtc_back_len728_factors_13_7_8_wgs_104_tpt_104_halfLds_dp_op_CI_CI_sbrr_dirReg.kd
    .uniform_work_group_size: 1
    .uses_dynamic_stack: false
    .vgpr_count:     149
    .vgpr_spill_count: 0
    .wavefront_size: 32
    .workgroup_processor_mode: 1
amdhsa.target:   amdgcn-amd-amdhsa--gfx1030
amdhsa.version:
  - 1
  - 2
...

	.end_amdgpu_metadata
